;; amdgpu-corpus repo=zjin-lcf/HeCBench kind=compiled arch=gfx1250 opt=O3
	.amdgcn_target "amdgcn-amd-amdhsa--gfx1250"
	.amdhsa_code_object_version 6
	.text
	.protected	_Z7cenergyifPfPK15HIP_vector_typeIfLj4EE ; -- Begin function _Z7cenergyifPfPK15HIP_vector_typeIfLj4EE
	.globl	_Z7cenergyifPfPK15HIP_vector_typeIfLj4EE
	.p2align	8
	.type	_Z7cenergyifPfPK15HIP_vector_typeIfLj4EE,@function
_Z7cenergyifPfPK15HIP_vector_typeIfLj4EE: ; @_Z7cenergyifPfPK15HIP_vector_typeIfLj4EE
; %bb.0:
	s_load_b32 s2, s[0:1], 0x24
	s_bfe_u32 s4, ttmp6, 0x4000c
	s_bfe_u32 s5, ttmp6, 0x40010
	s_clause 0x1
	s_load_b64 s[12:13], s[0:1], 0x0
	s_load_b128 s[8:11], s[0:1], 0x8
	s_add_co_i32 s4, s4, 1
	s_add_co_i32 s5, s5, 1
	s_and_b32 s3, ttmp6, 15
	s_bfe_u32 s6, ttmp6, 0x40004
	s_mul_i32 s4, ttmp9, s4
	s_mul_i32 s5, ttmp7, s5
	s_getreg_b32 s7, hwreg(HW_REG_IB_STS2, 6, 4)
	s_add_co_i32 s3, s3, s4
	s_add_co_i32 s6, s6, s5
	v_bfe_u32 v1, v0, 10, 10
	v_and_b32_e32 v0, 0x3ff, v0
	s_wait_kmcnt 0x0
	s_lshr_b32 s4, s2, 16
	s_and_b32 s15, s2, 0xffff
	s_cmp_eq_u32 s7, 0
	s_cselect_b32 s2, ttmp7, s6
	s_delay_alu instid0(SALU_CYCLE_1) | instskip(SKIP_3) | instid1(SALU_CYCLE_1)
	v_mad_u32 v8, s2, s4, v1
	s_cselect_b32 s2, ttmp9, s3
	s_cmp_lt_i32 s12, 1
	s_mul_i32 s2, s2, s15
	v_lshl_add_u32 v9, s2, 3, v0
	s_cbranch_scc1 .LBB0_3
; %bb.1:
	s_delay_alu instid0(VALU_DEP_2) | instskip(NEXT) | instid1(VALU_DEP_2)
	v_cvt_f32_u32_e32 v1, v8
	v_cvt_f32_u32_e32 v2, v9
	v_mov_b32_e32 v0, 0
	s_add_nc_u64 s[10:11], s[10:11], 8
	s_mov_b32 s14, 0x45800000
	s_delay_alu instid0(VALU_DEP_2) | instskip(NEXT) | instid1(VALU_DEP_2)
	v_dual_mul_f32 v10, s13, v1 :: v_dual_mul_f32 v11, s13, v2
	v_dual_mov_b32 v1, v0 :: v_dual_mov_b32 v2, v0
	v_dual_mov_b32 v3, v0 :: v_dual_mov_b32 v4, v0
	;; [unrolled: 1-line block ×3, first 2 shown]
	v_mov_b32_e32 v7, v0
	s_mul_f32 s13, s13, 0x41000000
.LBB0_2:                                ; =>This Inner Loop Header: Depth=1
	s_add_nc_u64 s[2:3], s[10:11], -8
	s_add_co_i32 s12, s12, -1
	s_load_b128 s[4:7], s[2:3], 0x0
	s_cmp_lg_u32 s12, 0
	s_add_nc_u64 s[10:11], s[10:11], 16
	s_wait_kmcnt 0x0
	v_dual_subrev_f32 v12, s5, v10 :: v_dual_subrev_f32 v13, s4, v11
	s_delay_alu instid0(VALU_DEP_1) | instskip(NEXT) | instid1(VALU_DEP_2)
	v_fma_f32 v14, v12, v12, s6
	v_add_f32_e32 v12, s13, v13
	s_delay_alu instid0(VALU_DEP_1) | instskip(NEXT) | instid1(VALU_DEP_1)
	v_pk_fma_f32 v[16:17], v[12:13], v[12:13], v[14:15] op_sel_hi:[1,1,0]
	v_dual_mul_f32 v15, 0x4b800000, v17 :: v_dual_mul_f32 v18, 0x4b800000, v16
	v_cmp_gt_f32_e64 s2, 0x800000, v17
	v_cmp_gt_f32_e32 vcc_lo, 0x800000, v16
	s_delay_alu instid0(VALU_DEP_2) | instskip(NEXT) | instid1(VALU_DEP_4)
	v_dual_cndmask_b32 v15, v17, v15, s2 :: v_dual_add_f32 v13, s13, v12
	v_cndmask_b32_e32 v18, v16, v18, vcc_lo
	s_delay_alu instid0(VALU_DEP_2) | instskip(NEXT) | instid1(VALU_DEP_2)
	v_rsq_f32_e32 v19, v15
	v_add_f32_e32 v12, s13, v13
	s_delay_alu instid0(VALU_DEP_2) | instskip(NEXT) | instid1(VALU_DEP_1)
	v_rsq_f32_e32 v18, v18
	v_pk_fma_f32 v[16:17], v[12:13], v[12:13], v[14:15] op_sel_hi:[1,1,0]
	s_delay_alu instid0(VALU_DEP_1) | instskip(SKIP_2) | instid1(VALU_DEP_1)
	v_dual_mul_f32 v15, 0x4b800000, v17 :: v_dual_mul_f32 v20, 0x4b800000, v16
	v_cmp_gt_f32_e64 s3, 0x800000, v16
	v_cmp_gt_f32_e64 s4, 0x800000, v17
	v_dual_cndmask_b32 v22, v16, v20, s3 :: v_dual_cndmask_b32 v15, v17, v15, s4
	s_delay_alu instid0(TRANS32_DEP_1) | instskip(SKIP_1) | instid1(VALU_DEP_3)
	v_pk_mul_f32 v[20:21], v[18:19], s[14:15] op_sel_hi:[1,0]
	v_add_f32_e32 v13, s13, v12
	v_rsq_f32_e32 v23, v15
	s_delay_alu instid0(VALU_DEP_2) | instskip(NEXT) | instid1(VALU_DEP_2)
	v_cndmask_b32_e64 v19, v19, v21, s2
	v_dual_add_f32 v12, s13, v13 :: v_dual_cndmask_b32 v18, v18, v20, vcc_lo
	s_delay_alu instid0(VALU_DEP_1) | instskip(NEXT) | instid1(VALU_DEP_1)
	v_pk_fma_f32 v[16:17], v[12:13], v[12:13], v[14:15] op_sel_hi:[1,1,0]
	v_dual_mul_f32 v15, 0x4b800000, v17 :: v_dual_mul_f32 v24, 0x4b800000, v16
	v_cmp_gt_f32_e64 s6, 0x800000, v17
	v_add_f32_e32 v13, s13, v12
	v_cmp_gt_f32_e64 s5, 0x800000, v16
	s_delay_alu instid0(VALU_DEP_2) | instskip(SKIP_1) | instid1(VALU_DEP_1)
	v_dual_cndmask_b32 v17, v17, v15, s6 :: v_dual_add_f32 v12, s13, v13
	v_rsq_f32_e32 v22, v22
	v_rsq_f32_e32 v17, v17
	s_delay_alu instid0(VALU_DEP_1) | instskip(NEXT) | instid1(TRANS32_DEP_2)
	v_pk_fma_f32 v[12:13], v[12:13], v[12:13], v[14:15] op_sel_hi:[1,1,0]
	v_pk_mul_f32 v[14:15], v[22:23], s[14:15] op_sel_hi:[1,0]
	v_cndmask_b32_e64 v16, v16, v24, s5
	s_delay_alu instid0(VALU_DEP_3) | instskip(SKIP_4) | instid1(VALU_DEP_2)
	v_dual_mul_f32 v20, 0x4b800000, v13 :: v_dual_mul_f32 v21, 0x4b800000, v12
	v_cmp_gt_f32_e32 vcc_lo, 0x800000, v12
	v_cmp_gt_f32_e64 s2, 0x800000, v13
	v_cndmask_b32_e64 v15, v23, v15, s4
	v_rsq_f32_e32 v16, v16
	v_dual_cndmask_b32 v12, v12, v21, vcc_lo :: v_dual_cndmask_b32 v13, v13, v20, s2
	s_delay_alu instid0(VALU_DEP_1) | instskip(NEXT) | instid1(VALU_DEP_1)
	v_rsq_f32_e32 v12, v12
	v_rsq_f32_e32 v13, v13
	s_delay_alu instid0(TRANS32_DEP_3) | instskip(NEXT) | instid1(VALU_DEP_1)
	v_pk_mul_f32 v[20:21], v[16:17], s[14:15] op_sel_hi:[1,0]
	v_dual_cndmask_b32 v14, v22, v14, s3 :: v_dual_cndmask_b32 v17, v17, v21, s6
	s_delay_alu instid0(TRANS32_DEP_1) | instskip(NEXT) | instid1(VALU_DEP_1)
	v_pk_mul_f32 v[22:23], v[12:13], s[14:15] op_sel_hi:[1,0]
	v_dual_cndmask_b32 v16, v16, v20, s5 :: v_dual_cndmask_b32 v13, v13, v23, s2
	s_delay_alu instid0(VALU_DEP_2) | instskip(SKIP_1) | instid1(SALU_CYCLE_1)
	v_cndmask_b32_e32 v12, v12, v22, vcc_lo
	s_mov_b32 s2, s7
	v_pk_fma_f32 v[6:7], s[2:3], v[18:19], v[6:7] op_sel_hi:[0,1,1]
	v_pk_fma_f32 v[4:5], s[2:3], v[14:15], v[4:5] op_sel_hi:[0,1,1]
	;; [unrolled: 1-line block ×4, first 2 shown]
	s_cbranch_scc1 .LBB0_2
	s_branch .LBB0_4
.LBB0_3:
	v_mov_b32_e32 v7, 0
	s_delay_alu instid0(VALU_DEP_1)
	v_dual_mov_b32 v6, v7 :: v_dual_mov_b32 v5, v7
	v_dual_mov_b32 v4, v7 :: v_dual_mov_b32 v3, v7
	;; [unrolled: 1-line block ×3, first 2 shown]
	v_mov_b32_e32 v0, v7
.LBB0_4:
	s_load_b32 s0, s[0:1], 0x18
	s_wait_kmcnt 0x0
	s_mul_i32 s0, s0, s15
	s_delay_alu instid0(SALU_CYCLE_1) | instskip(NEXT) | instid1(VALU_DEP_1)
	v_mul_lo_u32 v8, s0, v8
	v_lshl_add_u32 v8, v8, 3, v9
	s_delay_alu instid0(VALU_DEP_1)
	v_dual_add_nc_u32 v9, 8, v8 :: v_dual_add_nc_u32 v10, 16, v8
	v_dual_add_nc_u32 v11, 24, v8 :: v_dual_add_nc_u32 v12, 32, v8
	;; [unrolled: 1-line block ×3, first 2 shown]
	v_add_nc_u32_e32 v15, 56, v8
	s_clause 0x7
	global_load_b32 v16, v8, s[8:9] scale_offset
	global_load_b32 v17, v9, s[8:9] scale_offset
	;; [unrolled: 1-line block ×8, first 2 shown]
	s_wait_loadcnt 0x6
	v_dual_add_f32 v7, v7, v16 :: v_dual_add_f32 v6, v6, v17
	s_wait_loadcnt 0x4
	v_dual_add_f32 v5, v5, v18 :: v_dual_add_f32 v4, v4, v19
	s_wait_loadcnt 0x2
	v_dual_add_f32 v3, v3, v20 :: v_dual_add_f32 v2, v2, v21
	s_wait_loadcnt 0x0
	v_dual_add_f32 v1, v1, v22 :: v_dual_add_f32 v0, v0, v23
	s_clause 0x7
	global_store_b32 v8, v7, s[8:9] scale_offset
	global_store_b32 v9, v6, s[8:9] scale_offset
	;; [unrolled: 1-line block ×8, first 2 shown]
	s_endpgm
	.section	.rodata,"a",@progbits
	.p2align	6, 0x0
	.amdhsa_kernel _Z7cenergyifPfPK15HIP_vector_typeIfLj4EE
		.amdhsa_group_segment_fixed_size 0
		.amdhsa_private_segment_fixed_size 0
		.amdhsa_kernarg_size 280
		.amdhsa_user_sgpr_count 2
		.amdhsa_user_sgpr_dispatch_ptr 0
		.amdhsa_user_sgpr_queue_ptr 0
		.amdhsa_user_sgpr_kernarg_segment_ptr 1
		.amdhsa_user_sgpr_dispatch_id 0
		.amdhsa_user_sgpr_kernarg_preload_length 0
		.amdhsa_user_sgpr_kernarg_preload_offset 0
		.amdhsa_user_sgpr_private_segment_size 0
		.amdhsa_wavefront_size32 1
		.amdhsa_uses_dynamic_stack 0
		.amdhsa_enable_private_segment 0
		.amdhsa_system_sgpr_workgroup_id_x 1
		.amdhsa_system_sgpr_workgroup_id_y 1
		.amdhsa_system_sgpr_workgroup_id_z 0
		.amdhsa_system_sgpr_workgroup_info 0
		.amdhsa_system_vgpr_workitem_id 1
		.amdhsa_next_free_vgpr 25
		.amdhsa_next_free_sgpr 16
		.amdhsa_named_barrier_count 0
		.amdhsa_reserve_vcc 1
		.amdhsa_float_round_mode_32 0
		.amdhsa_float_round_mode_16_64 0
		.amdhsa_float_denorm_mode_32 3
		.amdhsa_float_denorm_mode_16_64 3
		.amdhsa_fp16_overflow 0
		.amdhsa_memory_ordered 1
		.amdhsa_forward_progress 1
		.amdhsa_inst_pref_size 9
		.amdhsa_round_robin_scheduling 0
		.amdhsa_exception_fp_ieee_invalid_op 0
		.amdhsa_exception_fp_denorm_src 0
		.amdhsa_exception_fp_ieee_div_zero 0
		.amdhsa_exception_fp_ieee_overflow 0
		.amdhsa_exception_fp_ieee_underflow 0
		.amdhsa_exception_fp_ieee_inexact 0
		.amdhsa_exception_int_div_zero 0
	.end_amdhsa_kernel
	.text
.Lfunc_end0:
	.size	_Z7cenergyifPfPK15HIP_vector_typeIfLj4EE, .Lfunc_end0-_Z7cenergyifPfPK15HIP_vector_typeIfLj4EE
                                        ; -- End function
	.set _Z7cenergyifPfPK15HIP_vector_typeIfLj4EE.num_vgpr, 25
	.set _Z7cenergyifPfPK15HIP_vector_typeIfLj4EE.num_agpr, 0
	.set _Z7cenergyifPfPK15HIP_vector_typeIfLj4EE.numbered_sgpr, 16
	.set _Z7cenergyifPfPK15HIP_vector_typeIfLj4EE.num_named_barrier, 0
	.set _Z7cenergyifPfPK15HIP_vector_typeIfLj4EE.private_seg_size, 0
	.set _Z7cenergyifPfPK15HIP_vector_typeIfLj4EE.uses_vcc, 1
	.set _Z7cenergyifPfPK15HIP_vector_typeIfLj4EE.uses_flat_scratch, 0
	.set _Z7cenergyifPfPK15HIP_vector_typeIfLj4EE.has_dyn_sized_stack, 0
	.set _Z7cenergyifPfPK15HIP_vector_typeIfLj4EE.has_recursion, 0
	.set _Z7cenergyifPfPK15HIP_vector_typeIfLj4EE.has_indirect_call, 0
	.section	.AMDGPU.csdata,"",@progbits
; Kernel info:
; codeLenInByte = 1120
; TotalNumSgprs: 18
; NumVgprs: 25
; ScratchSize: 0
; MemoryBound: 0
; FloatMode: 240
; IeeeMode: 1
; LDSByteSize: 0 bytes/workgroup (compile time only)
; SGPRBlocks: 0
; VGPRBlocks: 1
; NumSGPRsForWavesPerEU: 18
; NumVGPRsForWavesPerEU: 25
; NamedBarCnt: 0
; Occupancy: 16
; WaveLimiterHint : 0
; COMPUTE_PGM_RSRC2:SCRATCH_EN: 0
; COMPUTE_PGM_RSRC2:USER_SGPR: 2
; COMPUTE_PGM_RSRC2:TRAP_HANDLER: 0
; COMPUTE_PGM_RSRC2:TGID_X_EN: 1
; COMPUTE_PGM_RSRC2:TGID_Y_EN: 1
; COMPUTE_PGM_RSRC2:TGID_Z_EN: 0
; COMPUTE_PGM_RSRC2:TIDIG_COMP_CNT: 1
	.text
	.p2alignl 7, 3214868480
	.fill 96, 4, 3214868480
	.section	.AMDGPU.gpr_maximums,"",@progbits
	.set amdgpu.max_num_vgpr, 0
	.set amdgpu.max_num_agpr, 0
	.set amdgpu.max_num_sgpr, 0
	.text
	.type	__hip_cuid_4f712ca2cd8b70e9,@object ; @__hip_cuid_4f712ca2cd8b70e9
	.section	.bss,"aw",@nobits
	.globl	__hip_cuid_4f712ca2cd8b70e9
__hip_cuid_4f712ca2cd8b70e9:
	.byte	0                               ; 0x0
	.size	__hip_cuid_4f712ca2cd8b70e9, 1

	.ident	"AMD clang version 22.0.0git (https://github.com/RadeonOpenCompute/llvm-project roc-7.2.4 26084 f58b06dce1f9c15707c5f808fd002e18c2accf7e)"
	.section	".note.GNU-stack","",@progbits
	.addrsig
	.addrsig_sym __hip_cuid_4f712ca2cd8b70e9
	.amdgpu_metadata
---
amdhsa.kernels:
  - .args:
      - .offset:         0
        .size:           4
        .value_kind:     by_value
      - .offset:         4
        .size:           4
        .value_kind:     by_value
      - .address_space:  global
        .offset:         8
        .size:           8
        .value_kind:     global_buffer
      - .address_space:  global
        .offset:         16
        .size:           8
        .value_kind:     global_buffer
      - .offset:         24
        .size:           4
        .value_kind:     hidden_block_count_x
      - .offset:         28
        .size:           4
        .value_kind:     hidden_block_count_y
      - .offset:         32
        .size:           4
        .value_kind:     hidden_block_count_z
      - .offset:         36
        .size:           2
        .value_kind:     hidden_group_size_x
      - .offset:         38
        .size:           2
        .value_kind:     hidden_group_size_y
      - .offset:         40
        .size:           2
        .value_kind:     hidden_group_size_z
      - .offset:         42
        .size:           2
        .value_kind:     hidden_remainder_x
      - .offset:         44
        .size:           2
        .value_kind:     hidden_remainder_y
      - .offset:         46
        .size:           2
        .value_kind:     hidden_remainder_z
      - .offset:         64
        .size:           8
        .value_kind:     hidden_global_offset_x
      - .offset:         72
        .size:           8
        .value_kind:     hidden_global_offset_y
      - .offset:         80
        .size:           8
        .value_kind:     hidden_global_offset_z
      - .offset:         88
        .size:           2
        .value_kind:     hidden_grid_dims
    .group_segment_fixed_size: 0
    .kernarg_segment_align: 8
    .kernarg_segment_size: 280
    .language:       OpenCL C
    .language_version:
      - 2
      - 0
    .max_flat_workgroup_size: 1024
    .name:           _Z7cenergyifPfPK15HIP_vector_typeIfLj4EE
    .private_segment_fixed_size: 0
    .sgpr_count:     18
    .sgpr_spill_count: 0
    .symbol:         _Z7cenergyifPfPK15HIP_vector_typeIfLj4EE.kd
    .uniform_work_group_size: 1
    .uses_dynamic_stack: false
    .vgpr_count:     25
    .vgpr_spill_count: 0
    .wavefront_size: 32
amdhsa.target:   amdgcn-amd-amdhsa--gfx1250
amdhsa.version:
  - 1
  - 2
...

	.end_amdgpu_metadata
